;; amdgpu-corpus repo=ROCm/rocSPARSE kind=compiled arch=gfx906 opt=O3
	.amdgcn_target "amdgcn-amd-amdhsa--gfx906"
	.amdhsa_code_object_version 6
	.section	.text._ZN9rocsparseL12gthrz_kernelILj512EfEEviPT0_S2_PKi21rocsparse_index_base_,"axG",@progbits,_ZN9rocsparseL12gthrz_kernelILj512EfEEviPT0_S2_PKi21rocsparse_index_base_,comdat
	.globl	_ZN9rocsparseL12gthrz_kernelILj512EfEEviPT0_S2_PKi21rocsparse_index_base_ ; -- Begin function _ZN9rocsparseL12gthrz_kernelILj512EfEEviPT0_S2_PKi21rocsparse_index_base_
	.p2align	8
	.type	_ZN9rocsparseL12gthrz_kernelILj512EfEEviPT0_S2_PKi21rocsparse_index_base_,@function
_ZN9rocsparseL12gthrz_kernelILj512EfEEviPT0_S2_PKi21rocsparse_index_base_: ; @_ZN9rocsparseL12gthrz_kernelILj512EfEEviPT0_S2_PKi21rocsparse_index_base_
; %bb.0:
	s_load_dword s0, s[4:5], 0x0
	v_lshl_or_b32 v0, s6, 9, v0
	s_waitcnt lgkmcnt(0)
	v_cmp_gt_i32_e32 vcc, s0, v0
	s_and_saveexec_b64 s[0:1], vcc
	s_cbranch_execz .LBB0_2
; %bb.1:
	s_load_dwordx2 s[0:1], s[4:5], 0x18
	v_ashrrev_i32_e32 v1, 31, v0
	v_lshlrev_b64 v[0:1], 2, v[0:1]
	v_mov_b32_e32 v5, 0
	s_waitcnt lgkmcnt(0)
	v_mov_b32_e32 v3, s1
	v_add_co_u32_e32 v2, vcc, s0, v0
	v_addc_co_u32_e32 v3, vcc, v3, v1, vcc
	global_load_dword v2, v[2:3], off
	s_load_dwordx4 s[0:3], s[4:5], 0x8
	s_load_dword s6, s[4:5], 0x20
	s_waitcnt lgkmcnt(0)
	v_mov_b32_e32 v4, s1
	v_mov_b32_e32 v6, s3
	s_waitcnt vmcnt(0)
	v_subrev_u32_e32 v2, s6, v2
	v_ashrrev_i32_e32 v3, 31, v2
	v_lshlrev_b64 v[2:3], 2, v[2:3]
	v_add_co_u32_e32 v2, vcc, s0, v2
	v_addc_co_u32_e32 v3, vcc, v4, v3, vcc
	global_load_dword v4, v[2:3], off
	v_add_co_u32_e32 v0, vcc, s2, v0
	v_addc_co_u32_e32 v1, vcc, v6, v1, vcc
	s_waitcnt vmcnt(0)
	global_store_dword v[0:1], v4, off
	global_store_dword v[2:3], v5, off
.LBB0_2:
	s_endpgm
	.section	.rodata,"a",@progbits
	.p2align	6, 0x0
	.amdhsa_kernel _ZN9rocsparseL12gthrz_kernelILj512EfEEviPT0_S2_PKi21rocsparse_index_base_
		.amdhsa_group_segment_fixed_size 0
		.amdhsa_private_segment_fixed_size 0
		.amdhsa_kernarg_size 36
		.amdhsa_user_sgpr_count 6
		.amdhsa_user_sgpr_private_segment_buffer 1
		.amdhsa_user_sgpr_dispatch_ptr 0
		.amdhsa_user_sgpr_queue_ptr 0
		.amdhsa_user_sgpr_kernarg_segment_ptr 1
		.amdhsa_user_sgpr_dispatch_id 0
		.amdhsa_user_sgpr_flat_scratch_init 0
		.amdhsa_user_sgpr_private_segment_size 0
		.amdhsa_uses_dynamic_stack 0
		.amdhsa_system_sgpr_private_segment_wavefront_offset 0
		.amdhsa_system_sgpr_workgroup_id_x 1
		.amdhsa_system_sgpr_workgroup_id_y 0
		.amdhsa_system_sgpr_workgroup_id_z 0
		.amdhsa_system_sgpr_workgroup_info 0
		.amdhsa_system_vgpr_workitem_id 0
		.amdhsa_next_free_vgpr 7
		.amdhsa_next_free_sgpr 7
		.amdhsa_reserve_vcc 1
		.amdhsa_reserve_flat_scratch 0
		.amdhsa_float_round_mode_32 0
		.amdhsa_float_round_mode_16_64 0
		.amdhsa_float_denorm_mode_32 3
		.amdhsa_float_denorm_mode_16_64 3
		.amdhsa_dx10_clamp 1
		.amdhsa_ieee_mode 1
		.amdhsa_fp16_overflow 0
		.amdhsa_exception_fp_ieee_invalid_op 0
		.amdhsa_exception_fp_denorm_src 0
		.amdhsa_exception_fp_ieee_div_zero 0
		.amdhsa_exception_fp_ieee_overflow 0
		.amdhsa_exception_fp_ieee_underflow 0
		.amdhsa_exception_fp_ieee_inexact 0
		.amdhsa_exception_int_div_zero 0
	.end_amdhsa_kernel
	.section	.text._ZN9rocsparseL12gthrz_kernelILj512EfEEviPT0_S2_PKi21rocsparse_index_base_,"axG",@progbits,_ZN9rocsparseL12gthrz_kernelILj512EfEEviPT0_S2_PKi21rocsparse_index_base_,comdat
.Lfunc_end0:
	.size	_ZN9rocsparseL12gthrz_kernelILj512EfEEviPT0_S2_PKi21rocsparse_index_base_, .Lfunc_end0-_ZN9rocsparseL12gthrz_kernelILj512EfEEviPT0_S2_PKi21rocsparse_index_base_
                                        ; -- End function
	.set _ZN9rocsparseL12gthrz_kernelILj512EfEEviPT0_S2_PKi21rocsparse_index_base_.num_vgpr, 7
	.set _ZN9rocsparseL12gthrz_kernelILj512EfEEviPT0_S2_PKi21rocsparse_index_base_.num_agpr, 0
	.set _ZN9rocsparseL12gthrz_kernelILj512EfEEviPT0_S2_PKi21rocsparse_index_base_.numbered_sgpr, 7
	.set _ZN9rocsparseL12gthrz_kernelILj512EfEEviPT0_S2_PKi21rocsparse_index_base_.num_named_barrier, 0
	.set _ZN9rocsparseL12gthrz_kernelILj512EfEEviPT0_S2_PKi21rocsparse_index_base_.private_seg_size, 0
	.set _ZN9rocsparseL12gthrz_kernelILj512EfEEviPT0_S2_PKi21rocsparse_index_base_.uses_vcc, 1
	.set _ZN9rocsparseL12gthrz_kernelILj512EfEEviPT0_S2_PKi21rocsparse_index_base_.uses_flat_scratch, 0
	.set _ZN9rocsparseL12gthrz_kernelILj512EfEEviPT0_S2_PKi21rocsparse_index_base_.has_dyn_sized_stack, 0
	.set _ZN9rocsparseL12gthrz_kernelILj512EfEEviPT0_S2_PKi21rocsparse_index_base_.has_recursion, 0
	.set _ZN9rocsparseL12gthrz_kernelILj512EfEEviPT0_S2_PKi21rocsparse_index_base_.has_indirect_call, 0
	.section	.AMDGPU.csdata,"",@progbits
; Kernel info:
; codeLenInByte = 176
; TotalNumSgprs: 11
; NumVgprs: 7
; ScratchSize: 0
; MemoryBound: 0
; FloatMode: 240
; IeeeMode: 1
; LDSByteSize: 0 bytes/workgroup (compile time only)
; SGPRBlocks: 1
; VGPRBlocks: 1
; NumSGPRsForWavesPerEU: 11
; NumVGPRsForWavesPerEU: 7
; Occupancy: 10
; WaveLimiterHint : 1
; COMPUTE_PGM_RSRC2:SCRATCH_EN: 0
; COMPUTE_PGM_RSRC2:USER_SGPR: 6
; COMPUTE_PGM_RSRC2:TRAP_HANDLER: 0
; COMPUTE_PGM_RSRC2:TGID_X_EN: 1
; COMPUTE_PGM_RSRC2:TGID_Y_EN: 0
; COMPUTE_PGM_RSRC2:TGID_Z_EN: 0
; COMPUTE_PGM_RSRC2:TIDIG_COMP_CNT: 0
	.section	.text._ZN9rocsparseL12gthrz_kernelILj512EdEEviPT0_S2_PKi21rocsparse_index_base_,"axG",@progbits,_ZN9rocsparseL12gthrz_kernelILj512EdEEviPT0_S2_PKi21rocsparse_index_base_,comdat
	.globl	_ZN9rocsparseL12gthrz_kernelILj512EdEEviPT0_S2_PKi21rocsparse_index_base_ ; -- Begin function _ZN9rocsparseL12gthrz_kernelILj512EdEEviPT0_S2_PKi21rocsparse_index_base_
	.p2align	8
	.type	_ZN9rocsparseL12gthrz_kernelILj512EdEEviPT0_S2_PKi21rocsparse_index_base_,@function
_ZN9rocsparseL12gthrz_kernelILj512EdEEviPT0_S2_PKi21rocsparse_index_base_: ; @_ZN9rocsparseL12gthrz_kernelILj512EdEEviPT0_S2_PKi21rocsparse_index_base_
; %bb.0:
	s_load_dword s0, s[4:5], 0x0
	v_lshl_or_b32 v0, s6, 9, v0
	s_waitcnt lgkmcnt(0)
	v_cmp_gt_i32_e32 vcc, s0, v0
	s_and_saveexec_b64 s[0:1], vcc
	s_cbranch_execz .LBB1_2
; %bb.1:
	s_load_dwordx2 s[0:1], s[4:5], 0x18
	v_ashrrev_i32_e32 v1, 31, v0
	v_lshlrev_b64 v[2:3], 2, v[0:1]
	v_lshlrev_b64 v[0:1], 3, v[0:1]
	v_mov_b32_e32 v6, 0
	s_waitcnt lgkmcnt(0)
	v_mov_b32_e32 v4, s1
	v_add_co_u32_e32 v2, vcc, s0, v2
	v_addc_co_u32_e32 v3, vcc, v4, v3, vcc
	global_load_dword v2, v[2:3], off
	s_load_dwordx4 s[0:3], s[4:5], 0x8
	s_load_dword s6, s[4:5], 0x20
	v_mov_b32_e32 v7, v6
	s_waitcnt lgkmcnt(0)
	v_mov_b32_e32 v4, s1
	v_mov_b32_e32 v8, s3
	s_waitcnt vmcnt(0)
	v_subrev_u32_e32 v2, s6, v2
	v_ashrrev_i32_e32 v3, 31, v2
	v_lshlrev_b64 v[2:3], 3, v[2:3]
	v_add_co_u32_e32 v2, vcc, s0, v2
	v_addc_co_u32_e32 v3, vcc, v4, v3, vcc
	global_load_dwordx2 v[4:5], v[2:3], off
	v_add_co_u32_e32 v0, vcc, s2, v0
	v_addc_co_u32_e32 v1, vcc, v8, v1, vcc
	s_waitcnt vmcnt(0)
	global_store_dwordx2 v[0:1], v[4:5], off
	global_store_dwordx2 v[2:3], v[6:7], off
.LBB1_2:
	s_endpgm
	.section	.rodata,"a",@progbits
	.p2align	6, 0x0
	.amdhsa_kernel _ZN9rocsparseL12gthrz_kernelILj512EdEEviPT0_S2_PKi21rocsparse_index_base_
		.amdhsa_group_segment_fixed_size 0
		.amdhsa_private_segment_fixed_size 0
		.amdhsa_kernarg_size 36
		.amdhsa_user_sgpr_count 6
		.amdhsa_user_sgpr_private_segment_buffer 1
		.amdhsa_user_sgpr_dispatch_ptr 0
		.amdhsa_user_sgpr_queue_ptr 0
		.amdhsa_user_sgpr_kernarg_segment_ptr 1
		.amdhsa_user_sgpr_dispatch_id 0
		.amdhsa_user_sgpr_flat_scratch_init 0
		.amdhsa_user_sgpr_private_segment_size 0
		.amdhsa_uses_dynamic_stack 0
		.amdhsa_system_sgpr_private_segment_wavefront_offset 0
		.amdhsa_system_sgpr_workgroup_id_x 1
		.amdhsa_system_sgpr_workgroup_id_y 0
		.amdhsa_system_sgpr_workgroup_id_z 0
		.amdhsa_system_sgpr_workgroup_info 0
		.amdhsa_system_vgpr_workitem_id 0
		.amdhsa_next_free_vgpr 9
		.amdhsa_next_free_sgpr 7
		.amdhsa_reserve_vcc 1
		.amdhsa_reserve_flat_scratch 0
		.amdhsa_float_round_mode_32 0
		.amdhsa_float_round_mode_16_64 0
		.amdhsa_float_denorm_mode_32 3
		.amdhsa_float_denorm_mode_16_64 3
		.amdhsa_dx10_clamp 1
		.amdhsa_ieee_mode 1
		.amdhsa_fp16_overflow 0
		.amdhsa_exception_fp_ieee_invalid_op 0
		.amdhsa_exception_fp_denorm_src 0
		.amdhsa_exception_fp_ieee_div_zero 0
		.amdhsa_exception_fp_ieee_overflow 0
		.amdhsa_exception_fp_ieee_underflow 0
		.amdhsa_exception_fp_ieee_inexact 0
		.amdhsa_exception_int_div_zero 0
	.end_amdhsa_kernel
	.section	.text._ZN9rocsparseL12gthrz_kernelILj512EdEEviPT0_S2_PKi21rocsparse_index_base_,"axG",@progbits,_ZN9rocsparseL12gthrz_kernelILj512EdEEviPT0_S2_PKi21rocsparse_index_base_,comdat
.Lfunc_end1:
	.size	_ZN9rocsparseL12gthrz_kernelILj512EdEEviPT0_S2_PKi21rocsparse_index_base_, .Lfunc_end1-_ZN9rocsparseL12gthrz_kernelILj512EdEEviPT0_S2_PKi21rocsparse_index_base_
                                        ; -- End function
	.set _ZN9rocsparseL12gthrz_kernelILj512EdEEviPT0_S2_PKi21rocsparse_index_base_.num_vgpr, 9
	.set _ZN9rocsparseL12gthrz_kernelILj512EdEEviPT0_S2_PKi21rocsparse_index_base_.num_agpr, 0
	.set _ZN9rocsparseL12gthrz_kernelILj512EdEEviPT0_S2_PKi21rocsparse_index_base_.numbered_sgpr, 7
	.set _ZN9rocsparseL12gthrz_kernelILj512EdEEviPT0_S2_PKi21rocsparse_index_base_.num_named_barrier, 0
	.set _ZN9rocsparseL12gthrz_kernelILj512EdEEviPT0_S2_PKi21rocsparse_index_base_.private_seg_size, 0
	.set _ZN9rocsparseL12gthrz_kernelILj512EdEEviPT0_S2_PKi21rocsparse_index_base_.uses_vcc, 1
	.set _ZN9rocsparseL12gthrz_kernelILj512EdEEviPT0_S2_PKi21rocsparse_index_base_.uses_flat_scratch, 0
	.set _ZN9rocsparseL12gthrz_kernelILj512EdEEviPT0_S2_PKi21rocsparse_index_base_.has_dyn_sized_stack, 0
	.set _ZN9rocsparseL12gthrz_kernelILj512EdEEviPT0_S2_PKi21rocsparse_index_base_.has_recursion, 0
	.set _ZN9rocsparseL12gthrz_kernelILj512EdEEviPT0_S2_PKi21rocsparse_index_base_.has_indirect_call, 0
	.section	.AMDGPU.csdata,"",@progbits
; Kernel info:
; codeLenInByte = 188
; TotalNumSgprs: 11
; NumVgprs: 9
; ScratchSize: 0
; MemoryBound: 0
; FloatMode: 240
; IeeeMode: 1
; LDSByteSize: 0 bytes/workgroup (compile time only)
; SGPRBlocks: 1
; VGPRBlocks: 2
; NumSGPRsForWavesPerEU: 11
; NumVGPRsForWavesPerEU: 9
; Occupancy: 10
; WaveLimiterHint : 1
; COMPUTE_PGM_RSRC2:SCRATCH_EN: 0
; COMPUTE_PGM_RSRC2:USER_SGPR: 6
; COMPUTE_PGM_RSRC2:TRAP_HANDLER: 0
; COMPUTE_PGM_RSRC2:TGID_X_EN: 1
; COMPUTE_PGM_RSRC2:TGID_Y_EN: 0
; COMPUTE_PGM_RSRC2:TGID_Z_EN: 0
; COMPUTE_PGM_RSRC2:TIDIG_COMP_CNT: 0
	.section	.text._ZN9rocsparseL12gthrz_kernelILj512E21rocsparse_complex_numIfEEEviPT0_S4_PKi21rocsparse_index_base_,"axG",@progbits,_ZN9rocsparseL12gthrz_kernelILj512E21rocsparse_complex_numIfEEEviPT0_S4_PKi21rocsparse_index_base_,comdat
	.globl	_ZN9rocsparseL12gthrz_kernelILj512E21rocsparse_complex_numIfEEEviPT0_S4_PKi21rocsparse_index_base_ ; -- Begin function _ZN9rocsparseL12gthrz_kernelILj512E21rocsparse_complex_numIfEEEviPT0_S4_PKi21rocsparse_index_base_
	.p2align	8
	.type	_ZN9rocsparseL12gthrz_kernelILj512E21rocsparse_complex_numIfEEEviPT0_S4_PKi21rocsparse_index_base_,@function
_ZN9rocsparseL12gthrz_kernelILj512E21rocsparse_complex_numIfEEEviPT0_S4_PKi21rocsparse_index_base_: ; @_ZN9rocsparseL12gthrz_kernelILj512E21rocsparse_complex_numIfEEEviPT0_S4_PKi21rocsparse_index_base_
; %bb.0:
	s_load_dword s0, s[4:5], 0x0
	v_lshl_or_b32 v0, s6, 9, v0
	s_waitcnt lgkmcnt(0)
	v_cmp_gt_i32_e32 vcc, s0, v0
	s_and_saveexec_b64 s[0:1], vcc
	s_cbranch_execz .LBB2_2
; %bb.1:
	s_load_dwordx2 s[0:1], s[4:5], 0x18
	v_ashrrev_i32_e32 v1, 31, v0
	v_lshlrev_b64 v[2:3], 2, v[0:1]
	v_lshlrev_b64 v[0:1], 3, v[0:1]
	v_mov_b32_e32 v6, 0
	s_waitcnt lgkmcnt(0)
	v_mov_b32_e32 v4, s1
	v_add_co_u32_e32 v2, vcc, s0, v2
	v_addc_co_u32_e32 v3, vcc, v4, v3, vcc
	global_load_dword v2, v[2:3], off
	s_load_dwordx4 s[0:3], s[4:5], 0x8
	s_load_dword s6, s[4:5], 0x20
	v_mov_b32_e32 v7, v6
	s_waitcnt lgkmcnt(0)
	v_mov_b32_e32 v4, s1
	v_mov_b32_e32 v8, s3
	s_waitcnt vmcnt(0)
	v_subrev_u32_e32 v2, s6, v2
	v_ashrrev_i32_e32 v3, 31, v2
	v_lshlrev_b64 v[2:3], 3, v[2:3]
	v_add_co_u32_e32 v2, vcc, s0, v2
	v_addc_co_u32_e32 v3, vcc, v4, v3, vcc
	global_load_dwordx2 v[4:5], v[2:3], off
	v_add_co_u32_e32 v0, vcc, s2, v0
	v_addc_co_u32_e32 v1, vcc, v8, v1, vcc
	s_waitcnt vmcnt(0)
	global_store_dwordx2 v[0:1], v[4:5], off
	global_store_dwordx2 v[2:3], v[6:7], off
.LBB2_2:
	s_endpgm
	.section	.rodata,"a",@progbits
	.p2align	6, 0x0
	.amdhsa_kernel _ZN9rocsparseL12gthrz_kernelILj512E21rocsparse_complex_numIfEEEviPT0_S4_PKi21rocsparse_index_base_
		.amdhsa_group_segment_fixed_size 0
		.amdhsa_private_segment_fixed_size 0
		.amdhsa_kernarg_size 36
		.amdhsa_user_sgpr_count 6
		.amdhsa_user_sgpr_private_segment_buffer 1
		.amdhsa_user_sgpr_dispatch_ptr 0
		.amdhsa_user_sgpr_queue_ptr 0
		.amdhsa_user_sgpr_kernarg_segment_ptr 1
		.amdhsa_user_sgpr_dispatch_id 0
		.amdhsa_user_sgpr_flat_scratch_init 0
		.amdhsa_user_sgpr_private_segment_size 0
		.amdhsa_uses_dynamic_stack 0
		.amdhsa_system_sgpr_private_segment_wavefront_offset 0
		.amdhsa_system_sgpr_workgroup_id_x 1
		.amdhsa_system_sgpr_workgroup_id_y 0
		.amdhsa_system_sgpr_workgroup_id_z 0
		.amdhsa_system_sgpr_workgroup_info 0
		.amdhsa_system_vgpr_workitem_id 0
		.amdhsa_next_free_vgpr 9
		.amdhsa_next_free_sgpr 7
		.amdhsa_reserve_vcc 1
		.amdhsa_reserve_flat_scratch 0
		.amdhsa_float_round_mode_32 0
		.amdhsa_float_round_mode_16_64 0
		.amdhsa_float_denorm_mode_32 3
		.amdhsa_float_denorm_mode_16_64 3
		.amdhsa_dx10_clamp 1
		.amdhsa_ieee_mode 1
		.amdhsa_fp16_overflow 0
		.amdhsa_exception_fp_ieee_invalid_op 0
		.amdhsa_exception_fp_denorm_src 0
		.amdhsa_exception_fp_ieee_div_zero 0
		.amdhsa_exception_fp_ieee_overflow 0
		.amdhsa_exception_fp_ieee_underflow 0
		.amdhsa_exception_fp_ieee_inexact 0
		.amdhsa_exception_int_div_zero 0
	.end_amdhsa_kernel
	.section	.text._ZN9rocsparseL12gthrz_kernelILj512E21rocsparse_complex_numIfEEEviPT0_S4_PKi21rocsparse_index_base_,"axG",@progbits,_ZN9rocsparseL12gthrz_kernelILj512E21rocsparse_complex_numIfEEEviPT0_S4_PKi21rocsparse_index_base_,comdat
.Lfunc_end2:
	.size	_ZN9rocsparseL12gthrz_kernelILj512E21rocsparse_complex_numIfEEEviPT0_S4_PKi21rocsparse_index_base_, .Lfunc_end2-_ZN9rocsparseL12gthrz_kernelILj512E21rocsparse_complex_numIfEEEviPT0_S4_PKi21rocsparse_index_base_
                                        ; -- End function
	.set _ZN9rocsparseL12gthrz_kernelILj512E21rocsparse_complex_numIfEEEviPT0_S4_PKi21rocsparse_index_base_.num_vgpr, 9
	.set _ZN9rocsparseL12gthrz_kernelILj512E21rocsparse_complex_numIfEEEviPT0_S4_PKi21rocsparse_index_base_.num_agpr, 0
	.set _ZN9rocsparseL12gthrz_kernelILj512E21rocsparse_complex_numIfEEEviPT0_S4_PKi21rocsparse_index_base_.numbered_sgpr, 7
	.set _ZN9rocsparseL12gthrz_kernelILj512E21rocsparse_complex_numIfEEEviPT0_S4_PKi21rocsparse_index_base_.num_named_barrier, 0
	.set _ZN9rocsparseL12gthrz_kernelILj512E21rocsparse_complex_numIfEEEviPT0_S4_PKi21rocsparse_index_base_.private_seg_size, 0
	.set _ZN9rocsparseL12gthrz_kernelILj512E21rocsparse_complex_numIfEEEviPT0_S4_PKi21rocsparse_index_base_.uses_vcc, 1
	.set _ZN9rocsparseL12gthrz_kernelILj512E21rocsparse_complex_numIfEEEviPT0_S4_PKi21rocsparse_index_base_.uses_flat_scratch, 0
	.set _ZN9rocsparseL12gthrz_kernelILj512E21rocsparse_complex_numIfEEEviPT0_S4_PKi21rocsparse_index_base_.has_dyn_sized_stack, 0
	.set _ZN9rocsparseL12gthrz_kernelILj512E21rocsparse_complex_numIfEEEviPT0_S4_PKi21rocsparse_index_base_.has_recursion, 0
	.set _ZN9rocsparseL12gthrz_kernelILj512E21rocsparse_complex_numIfEEEviPT0_S4_PKi21rocsparse_index_base_.has_indirect_call, 0
	.section	.AMDGPU.csdata,"",@progbits
; Kernel info:
; codeLenInByte = 188
; TotalNumSgprs: 11
; NumVgprs: 9
; ScratchSize: 0
; MemoryBound: 0
; FloatMode: 240
; IeeeMode: 1
; LDSByteSize: 0 bytes/workgroup (compile time only)
; SGPRBlocks: 1
; VGPRBlocks: 2
; NumSGPRsForWavesPerEU: 11
; NumVGPRsForWavesPerEU: 9
; Occupancy: 10
; WaveLimiterHint : 1
; COMPUTE_PGM_RSRC2:SCRATCH_EN: 0
; COMPUTE_PGM_RSRC2:USER_SGPR: 6
; COMPUTE_PGM_RSRC2:TRAP_HANDLER: 0
; COMPUTE_PGM_RSRC2:TGID_X_EN: 1
; COMPUTE_PGM_RSRC2:TGID_Y_EN: 0
; COMPUTE_PGM_RSRC2:TGID_Z_EN: 0
; COMPUTE_PGM_RSRC2:TIDIG_COMP_CNT: 0
	.section	.text._ZN9rocsparseL12gthrz_kernelILj512E21rocsparse_complex_numIdEEEviPT0_S4_PKi21rocsparse_index_base_,"axG",@progbits,_ZN9rocsparseL12gthrz_kernelILj512E21rocsparse_complex_numIdEEEviPT0_S4_PKi21rocsparse_index_base_,comdat
	.globl	_ZN9rocsparseL12gthrz_kernelILj512E21rocsparse_complex_numIdEEEviPT0_S4_PKi21rocsparse_index_base_ ; -- Begin function _ZN9rocsparseL12gthrz_kernelILj512E21rocsparse_complex_numIdEEEviPT0_S4_PKi21rocsparse_index_base_
	.p2align	8
	.type	_ZN9rocsparseL12gthrz_kernelILj512E21rocsparse_complex_numIdEEEviPT0_S4_PKi21rocsparse_index_base_,@function
_ZN9rocsparseL12gthrz_kernelILj512E21rocsparse_complex_numIdEEEviPT0_S4_PKi21rocsparse_index_base_: ; @_ZN9rocsparseL12gthrz_kernelILj512E21rocsparse_complex_numIdEEEviPT0_S4_PKi21rocsparse_index_base_
; %bb.0:
	s_load_dword s0, s[4:5], 0x0
	v_lshl_or_b32 v0, s6, 9, v0
	s_waitcnt lgkmcnt(0)
	v_cmp_gt_i32_e32 vcc, s0, v0
	s_and_saveexec_b64 s[0:1], vcc
	s_cbranch_execz .LBB3_2
; %bb.1:
	s_load_dwordx2 s[0:1], s[4:5], 0x18
	v_ashrrev_i32_e32 v1, 31, v0
	v_lshlrev_b64 v[2:3], 2, v[0:1]
	v_lshlrev_b64 v[0:1], 4, v[0:1]
	v_mov_b32_e32 v6, 0
	s_waitcnt lgkmcnt(0)
	v_mov_b32_e32 v4, s1
	v_add_co_u32_e32 v2, vcc, s0, v2
	v_addc_co_u32_e32 v3, vcc, v4, v3, vcc
	global_load_dword v2, v[2:3], off
	s_load_dwordx4 s[0:3], s[4:5], 0x8
	s_load_dword s6, s[4:5], 0x20
	v_mov_b32_e32 v7, v6
	v_mov_b32_e32 v8, v6
	;; [unrolled: 1-line block ×3, first 2 shown]
	s_waitcnt lgkmcnt(0)
	v_mov_b32_e32 v4, s1
	v_mov_b32_e32 v12, s3
	s_waitcnt vmcnt(0)
	v_subrev_u32_e32 v2, s6, v2
	v_ashrrev_i32_e32 v3, 31, v2
	v_lshlrev_b64 v[2:3], 4, v[2:3]
	v_add_co_u32_e32 v10, vcc, s0, v2
	v_addc_co_u32_e32 v11, vcc, v4, v3, vcc
	global_load_dwordx4 v[2:5], v[10:11], off
	v_add_co_u32_e32 v0, vcc, s2, v0
	v_addc_co_u32_e32 v1, vcc, v12, v1, vcc
	s_waitcnt vmcnt(0)
	global_store_dwordx4 v[0:1], v[2:5], off
	global_store_dwordx4 v[10:11], v[6:9], off
.LBB3_2:
	s_endpgm
	.section	.rodata,"a",@progbits
	.p2align	6, 0x0
	.amdhsa_kernel _ZN9rocsparseL12gthrz_kernelILj512E21rocsparse_complex_numIdEEEviPT0_S4_PKi21rocsparse_index_base_
		.amdhsa_group_segment_fixed_size 0
		.amdhsa_private_segment_fixed_size 0
		.amdhsa_kernarg_size 36
		.amdhsa_user_sgpr_count 6
		.amdhsa_user_sgpr_private_segment_buffer 1
		.amdhsa_user_sgpr_dispatch_ptr 0
		.amdhsa_user_sgpr_queue_ptr 0
		.amdhsa_user_sgpr_kernarg_segment_ptr 1
		.amdhsa_user_sgpr_dispatch_id 0
		.amdhsa_user_sgpr_flat_scratch_init 0
		.amdhsa_user_sgpr_private_segment_size 0
		.amdhsa_uses_dynamic_stack 0
		.amdhsa_system_sgpr_private_segment_wavefront_offset 0
		.amdhsa_system_sgpr_workgroup_id_x 1
		.amdhsa_system_sgpr_workgroup_id_y 0
		.amdhsa_system_sgpr_workgroup_id_z 0
		.amdhsa_system_sgpr_workgroup_info 0
		.amdhsa_system_vgpr_workitem_id 0
		.amdhsa_next_free_vgpr 13
		.amdhsa_next_free_sgpr 7
		.amdhsa_reserve_vcc 1
		.amdhsa_reserve_flat_scratch 0
		.amdhsa_float_round_mode_32 0
		.amdhsa_float_round_mode_16_64 0
		.amdhsa_float_denorm_mode_32 3
		.amdhsa_float_denorm_mode_16_64 3
		.amdhsa_dx10_clamp 1
		.amdhsa_ieee_mode 1
		.amdhsa_fp16_overflow 0
		.amdhsa_exception_fp_ieee_invalid_op 0
		.amdhsa_exception_fp_denorm_src 0
		.amdhsa_exception_fp_ieee_div_zero 0
		.amdhsa_exception_fp_ieee_overflow 0
		.amdhsa_exception_fp_ieee_underflow 0
		.amdhsa_exception_fp_ieee_inexact 0
		.amdhsa_exception_int_div_zero 0
	.end_amdhsa_kernel
	.section	.text._ZN9rocsparseL12gthrz_kernelILj512E21rocsparse_complex_numIdEEEviPT0_S4_PKi21rocsparse_index_base_,"axG",@progbits,_ZN9rocsparseL12gthrz_kernelILj512E21rocsparse_complex_numIdEEEviPT0_S4_PKi21rocsparse_index_base_,comdat
.Lfunc_end3:
	.size	_ZN9rocsparseL12gthrz_kernelILj512E21rocsparse_complex_numIdEEEviPT0_S4_PKi21rocsparse_index_base_, .Lfunc_end3-_ZN9rocsparseL12gthrz_kernelILj512E21rocsparse_complex_numIdEEEviPT0_S4_PKi21rocsparse_index_base_
                                        ; -- End function
	.set _ZN9rocsparseL12gthrz_kernelILj512E21rocsparse_complex_numIdEEEviPT0_S4_PKi21rocsparse_index_base_.num_vgpr, 13
	.set _ZN9rocsparseL12gthrz_kernelILj512E21rocsparse_complex_numIdEEEviPT0_S4_PKi21rocsparse_index_base_.num_agpr, 0
	.set _ZN9rocsparseL12gthrz_kernelILj512E21rocsparse_complex_numIdEEEviPT0_S4_PKi21rocsparse_index_base_.numbered_sgpr, 7
	.set _ZN9rocsparseL12gthrz_kernelILj512E21rocsparse_complex_numIdEEEviPT0_S4_PKi21rocsparse_index_base_.num_named_barrier, 0
	.set _ZN9rocsparseL12gthrz_kernelILj512E21rocsparse_complex_numIdEEEviPT0_S4_PKi21rocsparse_index_base_.private_seg_size, 0
	.set _ZN9rocsparseL12gthrz_kernelILj512E21rocsparse_complex_numIdEEEviPT0_S4_PKi21rocsparse_index_base_.uses_vcc, 1
	.set _ZN9rocsparseL12gthrz_kernelILj512E21rocsparse_complex_numIdEEEviPT0_S4_PKi21rocsparse_index_base_.uses_flat_scratch, 0
	.set _ZN9rocsparseL12gthrz_kernelILj512E21rocsparse_complex_numIdEEEviPT0_S4_PKi21rocsparse_index_base_.has_dyn_sized_stack, 0
	.set _ZN9rocsparseL12gthrz_kernelILj512E21rocsparse_complex_numIdEEEviPT0_S4_PKi21rocsparse_index_base_.has_recursion, 0
	.set _ZN9rocsparseL12gthrz_kernelILj512E21rocsparse_complex_numIdEEEviPT0_S4_PKi21rocsparse_index_base_.has_indirect_call, 0
	.section	.AMDGPU.csdata,"",@progbits
; Kernel info:
; codeLenInByte = 196
; TotalNumSgprs: 11
; NumVgprs: 13
; ScratchSize: 0
; MemoryBound: 0
; FloatMode: 240
; IeeeMode: 1
; LDSByteSize: 0 bytes/workgroup (compile time only)
; SGPRBlocks: 1
; VGPRBlocks: 3
; NumSGPRsForWavesPerEU: 11
; NumVGPRsForWavesPerEU: 13
; Occupancy: 10
; WaveLimiterHint : 1
; COMPUTE_PGM_RSRC2:SCRATCH_EN: 0
; COMPUTE_PGM_RSRC2:USER_SGPR: 6
; COMPUTE_PGM_RSRC2:TRAP_HANDLER: 0
; COMPUTE_PGM_RSRC2:TGID_X_EN: 1
; COMPUTE_PGM_RSRC2:TGID_Y_EN: 0
; COMPUTE_PGM_RSRC2:TGID_Z_EN: 0
; COMPUTE_PGM_RSRC2:TIDIG_COMP_CNT: 0
	.section	.AMDGPU.gpr_maximums,"",@progbits
	.set amdgpu.max_num_vgpr, 0
	.set amdgpu.max_num_agpr, 0
	.set amdgpu.max_num_sgpr, 0
	.section	.AMDGPU.csdata,"",@progbits
	.type	__hip_cuid_ed564286aad0c12f,@object ; @__hip_cuid_ed564286aad0c12f
	.section	.bss,"aw",@nobits
	.globl	__hip_cuid_ed564286aad0c12f
__hip_cuid_ed564286aad0c12f:
	.byte	0                               ; 0x0
	.size	__hip_cuid_ed564286aad0c12f, 1

	.ident	"AMD clang version 22.0.0git (https://github.com/RadeonOpenCompute/llvm-project roc-7.2.4 26084 f58b06dce1f9c15707c5f808fd002e18c2accf7e)"
	.section	".note.GNU-stack","",@progbits
	.addrsig
	.addrsig_sym __hip_cuid_ed564286aad0c12f
	.amdgpu_metadata
---
amdhsa.kernels:
  - .args:
      - .offset:         0
        .size:           4
        .value_kind:     by_value
      - .address_space:  global
        .offset:         8
        .size:           8
        .value_kind:     global_buffer
      - .address_space:  global
        .offset:         16
        .size:           8
        .value_kind:     global_buffer
      - .address_space:  global
        .offset:         24
        .size:           8
        .value_kind:     global_buffer
      - .offset:         32
        .size:           4
        .value_kind:     by_value
    .group_segment_fixed_size: 0
    .kernarg_segment_align: 8
    .kernarg_segment_size: 36
    .language:       OpenCL C
    .language_version:
      - 2
      - 0
    .max_flat_workgroup_size: 512
    .name:           _ZN9rocsparseL12gthrz_kernelILj512EfEEviPT0_S2_PKi21rocsparse_index_base_
    .private_segment_fixed_size: 0
    .sgpr_count:     11
    .sgpr_spill_count: 0
    .symbol:         _ZN9rocsparseL12gthrz_kernelILj512EfEEviPT0_S2_PKi21rocsparse_index_base_.kd
    .uniform_work_group_size: 1
    .uses_dynamic_stack: false
    .vgpr_count:     7
    .vgpr_spill_count: 0
    .wavefront_size: 64
  - .args:
      - .offset:         0
        .size:           4
        .value_kind:     by_value
      - .address_space:  global
        .offset:         8
        .size:           8
        .value_kind:     global_buffer
      - .address_space:  global
        .offset:         16
        .size:           8
        .value_kind:     global_buffer
      - .address_space:  global
        .offset:         24
        .size:           8
        .value_kind:     global_buffer
      - .offset:         32
        .size:           4
        .value_kind:     by_value
    .group_segment_fixed_size: 0
    .kernarg_segment_align: 8
    .kernarg_segment_size: 36
    .language:       OpenCL C
    .language_version:
      - 2
      - 0
    .max_flat_workgroup_size: 512
    .name:           _ZN9rocsparseL12gthrz_kernelILj512EdEEviPT0_S2_PKi21rocsparse_index_base_
    .private_segment_fixed_size: 0
    .sgpr_count:     11
    .sgpr_spill_count: 0
    .symbol:         _ZN9rocsparseL12gthrz_kernelILj512EdEEviPT0_S2_PKi21rocsparse_index_base_.kd
    .uniform_work_group_size: 1
    .uses_dynamic_stack: false
    .vgpr_count:     9
    .vgpr_spill_count: 0
    .wavefront_size: 64
  - .args:
      - .offset:         0
        .size:           4
        .value_kind:     by_value
      - .address_space:  global
        .offset:         8
        .size:           8
        .value_kind:     global_buffer
      - .address_space:  global
        .offset:         16
        .size:           8
        .value_kind:     global_buffer
      - .address_space:  global
        .offset:         24
        .size:           8
        .value_kind:     global_buffer
      - .offset:         32
        .size:           4
        .value_kind:     by_value
    .group_segment_fixed_size: 0
    .kernarg_segment_align: 8
    .kernarg_segment_size: 36
    .language:       OpenCL C
    .language_version:
      - 2
      - 0
    .max_flat_workgroup_size: 512
    .name:           _ZN9rocsparseL12gthrz_kernelILj512E21rocsparse_complex_numIfEEEviPT0_S4_PKi21rocsparse_index_base_
    .private_segment_fixed_size: 0
    .sgpr_count:     11
    .sgpr_spill_count: 0
    .symbol:         _ZN9rocsparseL12gthrz_kernelILj512E21rocsparse_complex_numIfEEEviPT0_S4_PKi21rocsparse_index_base_.kd
    .uniform_work_group_size: 1
    .uses_dynamic_stack: false
    .vgpr_count:     9
    .vgpr_spill_count: 0
    .wavefront_size: 64
  - .args:
      - .offset:         0
        .size:           4
        .value_kind:     by_value
      - .address_space:  global
        .offset:         8
        .size:           8
        .value_kind:     global_buffer
      - .address_space:  global
        .offset:         16
        .size:           8
        .value_kind:     global_buffer
      - .address_space:  global
        .offset:         24
        .size:           8
        .value_kind:     global_buffer
      - .offset:         32
        .size:           4
        .value_kind:     by_value
    .group_segment_fixed_size: 0
    .kernarg_segment_align: 8
    .kernarg_segment_size: 36
    .language:       OpenCL C
    .language_version:
      - 2
      - 0
    .max_flat_workgroup_size: 512
    .name:           _ZN9rocsparseL12gthrz_kernelILj512E21rocsparse_complex_numIdEEEviPT0_S4_PKi21rocsparse_index_base_
    .private_segment_fixed_size: 0
    .sgpr_count:     11
    .sgpr_spill_count: 0
    .symbol:         _ZN9rocsparseL12gthrz_kernelILj512E21rocsparse_complex_numIdEEEviPT0_S4_PKi21rocsparse_index_base_.kd
    .uniform_work_group_size: 1
    .uses_dynamic_stack: false
    .vgpr_count:     13
    .vgpr_spill_count: 0
    .wavefront_size: 64
amdhsa.target:   amdgcn-amd-amdhsa--gfx906
amdhsa.version:
  - 1
  - 2
...

	.end_amdgpu_metadata
